;; amdgpu-corpus repo=ROCm/rocFFT kind=compiled arch=gfx906 opt=O3
	.text
	.amdgcn_target "amdgcn-amd-amdhsa--gfx906"
	.amdhsa_code_object_version 6
	.protected	fft_rtc_fwd_len1323_factors_3_3_3_7_7_wgs_189_tpt_189_dp_op_CI_CI_sbrr_dirReg ; -- Begin function fft_rtc_fwd_len1323_factors_3_3_3_7_7_wgs_189_tpt_189_dp_op_CI_CI_sbrr_dirReg
	.globl	fft_rtc_fwd_len1323_factors_3_3_3_7_7_wgs_189_tpt_189_dp_op_CI_CI_sbrr_dirReg
	.p2align	8
	.type	fft_rtc_fwd_len1323_factors_3_3_3_7_7_wgs_189_tpt_189_dp_op_CI_CI_sbrr_dirReg,@function
fft_rtc_fwd_len1323_factors_3_3_3_7_7_wgs_189_tpt_189_dp_op_CI_CI_sbrr_dirReg: ; @fft_rtc_fwd_len1323_factors_3_3_3_7_7_wgs_189_tpt_189_dp_op_CI_CI_sbrr_dirReg
; %bb.0:
	s_load_dwordx4 s[16:19], s[4:5], 0x18
	s_load_dwordx4 s[12:15], s[4:5], 0x0
	;; [unrolled: 1-line block ×3, first 2 shown]
	v_mul_u32_u24_e32 v1, 0x15b, v0
	v_add_u32_sdwa v6, s6, v1 dst_sel:DWORD dst_unused:UNUSED_PAD src0_sel:DWORD src1_sel:WORD_1
	s_waitcnt lgkmcnt(0)
	s_load_dwordx2 s[20:21], s[16:17], 0x0
	s_load_dwordx2 s[2:3], s[18:19], 0x0
	v_cmp_lt_u64_e64 s[0:1], s[14:15], 2
	v_mov_b32_e32 v1, 0
	v_mov_b32_e32 v4, 0
	;; [unrolled: 1-line block ×3, first 2 shown]
	s_and_b64 vcc, exec, s[0:1]
	v_mov_b32_e32 v5, 0
	s_cbranch_vccnz .LBB0_8
; %bb.1:
	s_load_dwordx2 s[0:1], s[4:5], 0x10
	s_add_u32 s6, s18, 8
	s_addc_u32 s7, s19, 0
	s_add_u32 s22, s16, 8
	v_mov_b32_e32 v4, 0
	s_addc_u32 s23, s17, 0
	v_mov_b32_e32 v5, 0
	s_waitcnt lgkmcnt(0)
	s_add_u32 s24, s0, 8
	v_mov_b32_e32 v37, v5
	s_addc_u32 s25, s1, 0
	s_mov_b64 s[26:27], 1
	v_mov_b32_e32 v36, v4
.LBB0_2:                                ; =>This Inner Loop Header: Depth=1
	s_load_dwordx2 s[28:29], s[24:25], 0x0
                                        ; implicit-def: $vgpr38_vgpr39
	s_waitcnt lgkmcnt(0)
	v_or_b32_e32 v2, s29, v7
	v_cmp_ne_u64_e32 vcc, 0, v[1:2]
	s_and_saveexec_b64 s[0:1], vcc
	s_xor_b64 s[30:31], exec, s[0:1]
	s_cbranch_execz .LBB0_4
; %bb.3:                                ;   in Loop: Header=BB0_2 Depth=1
	v_cvt_f32_u32_e32 v2, s28
	v_cvt_f32_u32_e32 v3, s29
	s_sub_u32 s0, 0, s28
	s_subb_u32 s1, 0, s29
	v_mac_f32_e32 v2, 0x4f800000, v3
	v_rcp_f32_e32 v2, v2
	v_mul_f32_e32 v2, 0x5f7ffffc, v2
	v_mul_f32_e32 v3, 0x2f800000, v2
	v_trunc_f32_e32 v3, v3
	v_mac_f32_e32 v2, 0xcf800000, v3
	v_cvt_u32_f32_e32 v3, v3
	v_cvt_u32_f32_e32 v2, v2
	v_mul_lo_u32 v8, s0, v3
	v_mul_hi_u32 v9, s0, v2
	v_mul_lo_u32 v11, s1, v2
	v_mul_lo_u32 v10, s0, v2
	v_add_u32_e32 v8, v9, v8
	v_add_u32_e32 v8, v8, v11
	v_mul_hi_u32 v9, v2, v10
	v_mul_lo_u32 v11, v2, v8
	v_mul_hi_u32 v13, v2, v8
	v_mul_hi_u32 v12, v3, v10
	v_mul_lo_u32 v10, v3, v10
	v_mul_hi_u32 v14, v3, v8
	v_add_co_u32_e32 v9, vcc, v9, v11
	v_addc_co_u32_e32 v11, vcc, 0, v13, vcc
	v_mul_lo_u32 v8, v3, v8
	v_add_co_u32_e32 v9, vcc, v9, v10
	v_addc_co_u32_e32 v9, vcc, v11, v12, vcc
	v_addc_co_u32_e32 v10, vcc, 0, v14, vcc
	v_add_co_u32_e32 v8, vcc, v9, v8
	v_addc_co_u32_e32 v9, vcc, 0, v10, vcc
	v_add_co_u32_e32 v2, vcc, v2, v8
	v_addc_co_u32_e32 v3, vcc, v3, v9, vcc
	v_mul_lo_u32 v8, s0, v3
	v_mul_hi_u32 v9, s0, v2
	v_mul_lo_u32 v10, s1, v2
	v_mul_lo_u32 v11, s0, v2
	v_add_u32_e32 v8, v9, v8
	v_add_u32_e32 v8, v8, v10
	v_mul_lo_u32 v12, v2, v8
	v_mul_hi_u32 v13, v2, v11
	v_mul_hi_u32 v14, v2, v8
	;; [unrolled: 1-line block ×3, first 2 shown]
	v_mul_lo_u32 v11, v3, v11
	v_mul_hi_u32 v9, v3, v8
	v_add_co_u32_e32 v12, vcc, v13, v12
	v_addc_co_u32_e32 v13, vcc, 0, v14, vcc
	v_mul_lo_u32 v8, v3, v8
	v_add_co_u32_e32 v11, vcc, v12, v11
	v_addc_co_u32_e32 v10, vcc, v13, v10, vcc
	v_addc_co_u32_e32 v9, vcc, 0, v9, vcc
	v_add_co_u32_e32 v8, vcc, v10, v8
	v_addc_co_u32_e32 v9, vcc, 0, v9, vcc
	v_add_co_u32_e32 v8, vcc, v2, v8
	v_addc_co_u32_e32 v9, vcc, v3, v9, vcc
	v_mad_u64_u32 v[2:3], s[0:1], v6, v9, 0
	v_mul_hi_u32 v10, v6, v8
	v_add_co_u32_e32 v10, vcc, v10, v2
	v_addc_co_u32_e32 v11, vcc, 0, v3, vcc
	v_mad_u64_u32 v[2:3], s[0:1], v7, v8, 0
	v_mad_u64_u32 v[8:9], s[0:1], v7, v9, 0
	v_add_co_u32_e32 v2, vcc, v10, v2
	v_addc_co_u32_e32 v2, vcc, v11, v3, vcc
	v_addc_co_u32_e32 v3, vcc, 0, v9, vcc
	v_add_co_u32_e32 v8, vcc, v2, v8
	v_addc_co_u32_e32 v9, vcc, 0, v3, vcc
	v_mul_lo_u32 v10, s29, v8
	v_mul_lo_u32 v11, s28, v9
	v_mad_u64_u32 v[2:3], s[0:1], s28, v8, 0
	v_add3_u32 v3, v3, v11, v10
	v_sub_u32_e32 v10, v7, v3
	v_mov_b32_e32 v11, s29
	v_sub_co_u32_e32 v2, vcc, v6, v2
	v_subb_co_u32_e64 v10, s[0:1], v10, v11, vcc
	v_subrev_co_u32_e64 v11, s[0:1], s28, v2
	v_subbrev_co_u32_e64 v10, s[0:1], 0, v10, s[0:1]
	v_cmp_le_u32_e64 s[0:1], s29, v10
	v_cndmask_b32_e64 v12, 0, -1, s[0:1]
	v_cmp_le_u32_e64 s[0:1], s28, v11
	v_cndmask_b32_e64 v11, 0, -1, s[0:1]
	v_cmp_eq_u32_e64 s[0:1], s29, v10
	v_cndmask_b32_e64 v10, v12, v11, s[0:1]
	v_add_co_u32_e64 v11, s[0:1], 2, v8
	v_addc_co_u32_e64 v12, s[0:1], 0, v9, s[0:1]
	v_add_co_u32_e64 v13, s[0:1], 1, v8
	v_addc_co_u32_e64 v14, s[0:1], 0, v9, s[0:1]
	v_subb_co_u32_e32 v3, vcc, v7, v3, vcc
	v_cmp_ne_u32_e64 s[0:1], 0, v10
	v_cmp_le_u32_e32 vcc, s29, v3
	v_cndmask_b32_e64 v10, v14, v12, s[0:1]
	v_cndmask_b32_e64 v12, 0, -1, vcc
	v_cmp_le_u32_e32 vcc, s28, v2
	v_cndmask_b32_e64 v2, 0, -1, vcc
	v_cmp_eq_u32_e32 vcc, s29, v3
	v_cndmask_b32_e32 v2, v12, v2, vcc
	v_cmp_ne_u32_e32 vcc, 0, v2
	v_cndmask_b32_e64 v2, v13, v11, s[0:1]
	v_cndmask_b32_e32 v39, v9, v10, vcc
	v_cndmask_b32_e32 v38, v8, v2, vcc
.LBB0_4:                                ;   in Loop: Header=BB0_2 Depth=1
	s_andn2_saveexec_b64 s[0:1], s[30:31]
	s_cbranch_execz .LBB0_6
; %bb.5:                                ;   in Loop: Header=BB0_2 Depth=1
	v_cvt_f32_u32_e32 v2, s28
	s_sub_i32 s30, 0, s28
	v_mov_b32_e32 v39, v1
	v_rcp_iflag_f32_e32 v2, v2
	v_mul_f32_e32 v2, 0x4f7ffffe, v2
	v_cvt_u32_f32_e32 v2, v2
	v_mul_lo_u32 v3, s30, v2
	v_mul_hi_u32 v3, v2, v3
	v_add_u32_e32 v2, v2, v3
	v_mul_hi_u32 v2, v6, v2
	v_mul_lo_u32 v3, v2, s28
	v_add_u32_e32 v8, 1, v2
	v_sub_u32_e32 v3, v6, v3
	v_subrev_u32_e32 v9, s28, v3
	v_cmp_le_u32_e32 vcc, s28, v3
	v_cndmask_b32_e32 v3, v3, v9, vcc
	v_cndmask_b32_e32 v2, v2, v8, vcc
	v_add_u32_e32 v8, 1, v2
	v_cmp_le_u32_e32 vcc, s28, v3
	v_cndmask_b32_e32 v38, v2, v8, vcc
.LBB0_6:                                ;   in Loop: Header=BB0_2 Depth=1
	s_or_b64 exec, exec, s[0:1]
	v_mul_lo_u32 v8, v39, s28
	v_mul_lo_u32 v9, v38, s29
	v_mad_u64_u32 v[2:3], s[0:1], v38, s28, 0
	s_load_dwordx2 s[0:1], s[22:23], 0x0
	s_load_dwordx2 s[28:29], s[6:7], 0x0
	v_add3_u32 v3, v3, v9, v8
	v_sub_co_u32_e32 v2, vcc, v6, v2
	v_subb_co_u32_e32 v3, vcc, v7, v3, vcc
	s_waitcnt lgkmcnt(0)
	v_mul_lo_u32 v6, s0, v3
	v_mul_lo_u32 v7, s1, v2
	v_mad_u64_u32 v[4:5], s[0:1], s0, v2, v[4:5]
	v_mul_lo_u32 v3, s28, v3
	v_mul_lo_u32 v8, s29, v2
	v_mad_u64_u32 v[36:37], s[0:1], s28, v2, v[36:37]
	s_add_u32 s26, s26, 1
	s_addc_u32 s27, s27, 0
	s_add_u32 s6, s6, 8
	v_add3_u32 v37, v8, v37, v3
	s_addc_u32 s7, s7, 0
	v_mov_b32_e32 v2, s14
	s_add_u32 s22, s22, 8
	v_mov_b32_e32 v3, s15
	s_addc_u32 s23, s23, 0
	v_cmp_ge_u64_e32 vcc, s[26:27], v[2:3]
	s_add_u32 s24, s24, 8
	v_add3_u32 v5, v7, v5, v6
	s_addc_u32 s25, s25, 0
	s_cbranch_vccnz .LBB0_9
; %bb.7:                                ;   in Loop: Header=BB0_2 Depth=1
	v_mov_b32_e32 v6, v38
	v_mov_b32_e32 v7, v39
	s_branch .LBB0_2
.LBB0_8:
	v_mov_b32_e32 v37, v5
	v_mov_b32_e32 v39, v7
	;; [unrolled: 1-line block ×4, first 2 shown]
.LBB0_9:
	s_load_dwordx2 s[0:1], s[4:5], 0x28
	s_lshl_b64 s[14:15], s[14:15], 3
	s_add_u32 s4, s18, s14
	s_addc_u32 s5, s19, s15
                                        ; implicit-def: $sgpr18
                                        ; implicit-def: $vgpr41
                                        ; implicit-def: $vgpr43
	s_waitcnt lgkmcnt(0)
	v_cmp_gt_u64_e32 vcc, s[0:1], v[38:39]
	v_cmp_le_u64_e64 s[0:1], s[0:1], v[38:39]
	s_and_saveexec_b64 s[6:7], s[0:1]
	s_xor_b64 s[0:1], exec, s[6:7]
; %bb.10:
	s_mov_b32 s6, 0x15ac057
	v_mul_hi_u32 v1, v0, s6
	s_mov_b32 s18, 0
                                        ; implicit-def: $vgpr4_vgpr5
	v_mul_u32_u24_e32 v1, 0xbd, v1
	v_sub_u32_e32 v41, v0, v1
	v_add_u32_e32 v43, 0xbd, v41
                                        ; implicit-def: $vgpr0
; %bb.11:
	s_or_saveexec_b64 s[6:7], s[0:1]
	s_load_dwordx2 s[4:5], s[4:5], 0x0
	v_mov_b32_e32 v40, s18
                                        ; implicit-def: $vgpr34_vgpr35
                                        ; implicit-def: $vgpr30_vgpr31
                                        ; implicit-def: $vgpr26_vgpr27
                                        ; implicit-def: $vgpr2_vgpr3
                                        ; implicit-def: $vgpr6_vgpr7
                                        ; implicit-def: $vgpr10_vgpr11
                                        ; implicit-def: $vgpr14_vgpr15
                                        ; implicit-def: $vgpr22_vgpr23
                                        ; implicit-def: $vgpr18_vgpr19
	s_xor_b64 exec, exec, s[6:7]
	s_cbranch_execz .LBB0_15
; %bb.12:
	s_add_u32 s0, s16, s14
	s_mov_b32 s14, 0x15ac057
	s_addc_u32 s1, s17, s15
	v_mul_hi_u32 v1, v0, s14
	s_load_dwordx2 s[0:1], s[0:1], 0x0
                                        ; implicit-def: $vgpr32_vgpr33
	v_mul_u32_u24_e32 v1, 0xbd, v1
	v_sub_u32_e32 v41, v0, v1
	s_waitcnt lgkmcnt(0)
	v_mul_lo_u32 v8, s1, v38
	v_mad_u64_u32 v[0:1], s[14:15], s20, v41, 0
	v_mul_lo_u32 v9, s0, v39
	v_mad_u64_u32 v[2:3], s[0:1], s0, v38, 0
	v_add_u32_e32 v43, 0xbd, v41
	v_mad_u64_u32 v[6:7], s[0:1], s21, v41, v[1:2]
	v_add3_u32 v3, v3, v9, v8
	v_lshlrev_b64 v[2:3], 4, v[2:3]
	v_mov_b32_e32 v1, v6
	v_mov_b32_e32 v6, s9
	v_add_co_u32_e64 v7, s[0:1], s8, v2
	v_add_u32_e32 v8, 0x1b9, v41
	v_addc_co_u32_e64 v6, s[0:1], v6, v3, s[0:1]
	v_lshlrev_b64 v[2:3], 4, v[4:5]
	v_mad_u64_u32 v[4:5], s[0:1], s20, v8, 0
	v_add_co_u32_e64 v34, s[0:1], v7, v2
	v_mov_b32_e32 v2, v5
	v_addc_co_u32_e64 v35, s[0:1], v6, v3, s[0:1]
	v_mad_u64_u32 v[2:3], s[0:1], s21, v8, v[2:3]
	v_add_u32_e32 v8, 0x372, v41
	v_mad_u64_u32 v[6:7], s[0:1], s20, v8, 0
	v_lshlrev_b64 v[0:1], 4, v[0:1]
	v_mov_b32_e32 v5, v2
	v_add_co_u32_e64 v0, s[0:1], v34, v0
	v_lshlrev_b64 v[2:3], 4, v[4:5]
	v_mov_b32_e32 v4, v7
	v_addc_co_u32_e64 v1, s[0:1], v35, v1, s[0:1]
	v_mad_u64_u32 v[4:5], s[0:1], s21, v8, v[4:5]
	v_mad_u64_u32 v[8:9], s[0:1], s20, v43, 0
	v_mov_b32_e32 v7, v4
	v_add_co_u32_e64 v2, s[0:1], v34, v2
	v_lshlrev_b64 v[4:5], 4, v[6:7]
	v_mov_b32_e32 v6, v9
	v_addc_co_u32_e64 v3, s[0:1], v35, v3, s[0:1]
	v_mad_u64_u32 v[6:7], s[0:1], s21, v43, v[6:7]
	v_add_u32_e32 v7, 0x276, v41
	v_mad_u64_u32 v[10:11], s[0:1], s20, v7, 0
	v_add_co_u32_e64 v24, s[0:1], v34, v4
	v_mov_b32_e32 v9, v6
	v_mov_b32_e32 v6, v11
	v_addc_co_u32_e64 v25, s[0:1], v35, v5, s[0:1]
	v_lshlrev_b64 v[4:5], 4, v[8:9]
	v_mad_u64_u32 v[6:7], s[0:1], s21, v7, v[6:7]
	v_add_u32_e32 v9, 0x42f, v41
	v_mad_u64_u32 v[7:8], s[0:1], s20, v9, 0
	v_add_co_u32_e64 v26, s[0:1], v34, v4
	v_mov_b32_e32 v11, v6
	v_mov_b32_e32 v6, v8
	v_addc_co_u32_e64 v27, s[0:1], v35, v5, s[0:1]
	v_mad_u64_u32 v[8:9], s[0:1], s21, v9, v[6:7]
	v_lshlrev_b64 v[4:5], 4, v[10:11]
	global_load_dwordx4 v[16:19], v[0:1], off
	global_load_dwordx4 v[20:23], v[2:3], off
	v_add_co_u32_e64 v28, s[0:1], v34, v4
	v_lshlrev_b64 v[0:1], 4, v[7:8]
	v_addc_co_u32_e64 v29, s[0:1], v35, v5, s[0:1]
	v_add_co_u32_e64 v30, s[0:1], v34, v0
	v_addc_co_u32_e64 v31, s[0:1], v35, v1, s[0:1]
	global_load_dwordx4 v[12:15], v[24:25], off
	global_load_dwordx4 v[8:11], v[26:27], off
	;; [unrolled: 1-line block ×4, first 2 shown]
	v_cmp_gt_u32_e64 s[0:1], 63, v41
                                        ; implicit-def: $vgpr24_vgpr25
                                        ; implicit-def: $vgpr28_vgpr29
	s_and_saveexec_b64 s[8:9], s[0:1]
	s_cbranch_execz .LBB0_14
; %bb.13:
	v_add_u32_e32 v28, 0x17a, v41
	v_add_u32_e32 v30, 0x333, v41
	v_mad_u64_u32 v[24:25], s[0:1], s20, v28, 0
	v_mad_u64_u32 v[26:27], s[0:1], s20, v30, 0
	;; [unrolled: 1-line block ×3, first 2 shown]
	v_mov_b32_e32 v25, v28
	v_mad_u64_u32 v[27:28], s[0:1], s21, v30, v[27:28]
	v_add_u32_e32 v28, 0x4ec, v41
	v_mad_u64_u32 v[32:33], s[0:1], s20, v28, 0
	v_lshlrev_b64 v[24:25], 4, v[24:25]
	v_add_co_u32_e64 v44, s[0:1], v34, v24
	v_addc_co_u32_e64 v45, s[0:1], v35, v25, s[0:1]
	v_lshlrev_b64 v[24:25], 4, v[26:27]
	v_mov_b32_e32 v26, v33
	v_mad_u64_u32 v[46:47], s[0:1], s21, v28, v[26:27]
	v_add_co_u32_e64 v47, s[0:1], v34, v24
	v_mov_b32_e32 v33, v46
	v_lshlrev_b64 v[32:33], 4, v[32:33]
	v_addc_co_u32_e64 v48, s[0:1], v35, v25, s[0:1]
	v_add_co_u32_e64 v32, s[0:1], v34, v32
	v_addc_co_u32_e64 v33, s[0:1], v35, v33, s[0:1]
	global_load_dwordx4 v[24:27], v[44:45], off
	global_load_dwordx4 v[28:31], v[47:48], off
	s_nop 0
	global_load_dwordx4 v[32:35], v[32:33], off
.LBB0_14:
	s_or_b64 exec, exec, s[8:9]
	v_mov_b32_e32 v40, v41
.LBB0_15:
	s_or_b64 exec, exec, s[6:7]
	s_waitcnt vmcnt(3)
	v_add_f64 v[44:45], v[12:13], v[20:21]
	v_add_f64 v[46:47], v[14:15], v[22:23]
	;; [unrolled: 1-line block ×4, first 2 shown]
	v_add_f64 v[22:23], v[22:23], -v[14:15]
	v_add_f64 v[52:53], v[20:21], -v[12:13]
	s_mov_b32 s0, 0xe8584caa
	s_mov_b32 s1, 0x3febb67a
	v_fma_f64 v[20:21], v[44:45], -0.5, v[16:17]
	v_fma_f64 v[44:45], v[46:47], -0.5, v[18:19]
	s_mov_b32 s7, 0xbfebb67a
	s_mov_b32 s6, s0
	s_waitcnt vmcnt(0)
	v_add_f64 v[46:47], v[0:1], v[4:5]
	v_add_f64 v[12:13], v[12:13], v[48:49]
	;; [unrolled: 1-line block ×4, first 2 shown]
	v_fma_f64 v[16:17], v[22:23], s[0:1], v[20:21]
	v_fma_f64 v[20:21], v[22:23], s[6:7], v[20:21]
	;; [unrolled: 1-line block ×3, first 2 shown]
	v_add_f64 v[50:51], v[4:5], v[8:9]
	v_add_f64 v[54:55], v[6:7], v[10:11]
	v_fma_f64 v[22:23], v[52:53], s[0:1], v[44:45]
	v_add_f64 v[52:53], v[32:33], v[28:29]
	v_add_f64 v[56:57], v[34:35], v[30:31]
	v_fma_f64 v[8:9], v[46:47], -0.5, v[8:9]
	v_add_f64 v[6:7], v[6:7], -v[2:3]
	v_fma_f64 v[10:11], v[48:49], -0.5, v[10:11]
	v_add_f64 v[4:5], v[4:5], -v[0:1]
	v_add_f64 v[45:46], v[0:1], v[50:51]
	v_add_f64 v[47:48], v[2:3], v[54:55]
	;; [unrolled: 1-line block ×3, first 2 shown]
	v_fma_f64 v[53:54], v[52:53], -0.5, v[24:25]
	v_add_f64 v[2:3], v[30:31], v[26:27]
	v_add_f64 v[30:31], v[30:31], -v[34:35]
	v_fma_f64 v[55:56], v[56:57], -0.5, v[26:27]
	v_add_f64 v[28:29], v[28:29], -v[32:33]
	v_fma_f64 v[49:50], v[6:7], s[0:1], v[8:9]
	v_fma_f64 v[24:25], v[6:7], s[6:7], v[8:9]
	;; [unrolled: 1-line block ×4, first 2 shown]
	v_add_f64 v[0:1], v[32:33], v[0:1]
	v_add_f64 v[2:3], v[34:35], v[2:3]
	v_fma_f64 v[4:5], v[30:31], s[0:1], v[53:54]
	v_fma_f64 v[8:9], v[30:31], s[6:7], v[53:54]
	;; [unrolled: 1-line block ×4, first 2 shown]
	v_mad_u32_u24 v42, v41, 48, 0
	v_mad_i32_i24 v44, v43, 48, 0
	v_cmp_gt_u32_e64 s[0:1], 63, v41
	ds_write_b128 v42, v[12:15]
	ds_write_b128 v42, v[16:19] offset:16
	ds_write_b128 v42, v[20:23] offset:32
	ds_write_b128 v44, v[45:48]
	ds_write_b128 v44, v[49:52] offset:16
	ds_write_b128 v44, v[24:27] offset:32
	s_and_saveexec_b64 s[6:7], s[0:1]
	s_cbranch_execz .LBB0_17
; %bb.16:
	ds_write_b128 v42, v[0:3] offset:18144
	ds_write_b128 v42, v[4:7] offset:18160
	;; [unrolled: 1-line block ×3, first 2 shown]
.LBB0_17:
	s_or_b64 exec, exec, s[6:7]
	v_lshlrev_b32_e32 v46, 5, v41
	v_lshlrev_b32_e32 v45, 5, v43
	v_sub_u32_e32 v24, v42, v46
	v_sub_u32_e32 v16, v44, v45
	s_waitcnt lgkmcnt(0)
	s_barrier
	ds_read_b128 v[12:15], v24
	ds_read_b128 v[32:35], v24 offset:7056
	ds_read_b128 v[28:31], v24 offset:14112
	ds_read_b128 v[20:23], v24 offset:10080
	ds_read_b128 v[16:19], v16
	ds_read_b128 v[24:27], v24 offset:17136
	v_sub_u32_e32 v46, 0, v46
	v_add_u32_e32 v42, v42, v46
	s_and_saveexec_b64 s[6:7], s[0:1]
	s_cbranch_execz .LBB0_19
; %bb.18:
	ds_read_b128 v[0:3], v42 offset:6048
	ds_read_b128 v[4:7], v42 offset:13104
	ds_read_b128 v[8:11], v42 offset:20160
.LBB0_19:
	s_or_b64 exec, exec, s[6:7]
	s_movk_i32 s6, 0xab
	v_mul_lo_u16_sdwa v46, v41, s6 dst_sel:DWORD dst_unused:UNUSED_PAD src0_sel:BYTE_0 src1_sel:DWORD
	v_lshrrev_b16_e32 v73, 9, v46
	v_mul_lo_u16_e32 v46, 3, v73
	v_sub_u16_e32 v74, v41, v46
	v_mov_b32_e32 v46, 5
	v_lshlrev_b32_sdwa v46, v46, v74 dst_sel:DWORD dst_unused:UNUSED_PAD src0_sel:DWORD src1_sel:BYTE_0
	s_mov_b32 s6, 0xaaab
	global_load_dwordx4 v[49:52], v46, s[12:13]
	global_load_dwordx4 v[53:56], v46, s[12:13] offset:16
	v_mul_u32_u24_sdwa v46, v43, s6 dst_sel:DWORD dst_unused:UNUSED_PAD src0_sel:WORD_0 src1_sel:DWORD
	v_lshrrev_b32_e32 v75, 17, v46
	v_mul_lo_u16_e32 v46, 3, v75
	v_sub_u16_e32 v76, v43, v46
	v_lshlrev_b32_e32 v46, 5, v76
	global_load_dwordx4 v[57:60], v46, s[12:13]
	global_load_dwordx4 v[61:64], v46, s[12:13] offset:16
	v_add_u32_e32 v46, 0x17a, v41
	v_mul_u32_u24_sdwa v47, v46, s6 dst_sel:DWORD dst_unused:UNUSED_PAD src0_sel:WORD_0 src1_sel:DWORD
	v_lshrrev_b32_e32 v47, 17, v47
	v_mul_lo_u16_e32 v48, 3, v47
	v_sub_u16_e32 v48, v46, v48
	v_lshlrev_b32_e32 v77, 5, v48
	global_load_dwordx4 v[65:68], v77, s[12:13]
	global_load_dwordx4 v[69:72], v77, s[12:13] offset:16
	v_mov_b32_e32 v77, 4
	v_mul_u32_u24_e32 v78, 0x90, v73
	v_mul_u32_u24_e32 v81, 0x90, v75
	v_lshlrev_b32_sdwa v75, v77, v74 dst_sel:DWORD dst_unused:UNUSED_PAD src0_sel:DWORD src1_sel:BYTE_0
	v_lshlrev_b32_e32 v82, 4, v76
	v_add3_u32 v83, 0, v78, v75
	s_mov_b32 s6, 0xe8584caa
	s_mov_b32 s7, 0x3febb67a
	;; [unrolled: 1-line block ×4, first 2 shown]
	v_sub_u32_e32 v45, 0, v45
	s_waitcnt vmcnt(0) lgkmcnt(0)
	s_barrier
	v_mul_f64 v[73:74], v[34:35], v[51:52]
	v_mul_f64 v[51:52], v[32:33], v[51:52]
	;; [unrolled: 1-line block ×5, first 2 shown]
	v_fma_f64 v[32:33], v[32:33], v[49:50], -v[73:74]
	v_fma_f64 v[34:35], v[34:35], v[49:50], v[51:52]
	v_mul_f64 v[49:50], v[20:21], v[59:60]
	v_mul_f64 v[51:52], v[26:27], v[63:64]
	;; [unrolled: 1-line block ×4, first 2 shown]
	v_fma_f64 v[28:29], v[28:29], v[53:54], -v[75:76]
	v_fma_f64 v[30:31], v[30:31], v[53:54], v[55:56]
	v_mul_f64 v[53:54], v[4:5], v[67:68]
	v_mul_f64 v[55:56], v[10:11], v[71:72]
	;; [unrolled: 1-line block ×3, first 2 shown]
	v_fma_f64 v[20:21], v[20:21], v[57:58], -v[77:78]
	v_fma_f64 v[22:23], v[22:23], v[57:58], v[49:50]
	v_fma_f64 v[4:5], v[4:5], v[65:66], -v[63:64]
	v_fma_f64 v[24:25], v[24:25], v[61:62], -v[51:52]
	v_fma_f64 v[26:27], v[26:27], v[61:62], v[59:60]
	v_fma_f64 v[6:7], v[6:7], v[65:66], v[53:54]
	v_fma_f64 v[8:9], v[8:9], v[69:70], -v[55:56]
	v_fma_f64 v[10:11], v[10:11], v[69:70], v[67:68]
	v_add_f64 v[49:50], v[12:13], v[32:33]
	v_add_f64 v[51:52], v[14:15], v[34:35]
	;; [unrolled: 1-line block ×10, first 2 shown]
	v_add_f64 v[77:78], v[6:7], -v[10:11]
	v_add_f64 v[79:80], v[4:5], -v[8:9]
	v_add_f64 v[4:5], v[69:70], v[8:9]
	v_add_f64 v[6:7], v[73:74], v[10:11]
	v_fma_f64 v[8:9], v[71:72], -0.5, v[0:1]
	v_fma_f64 v[10:11], v[75:76], -0.5, v[2:3]
	v_add_f64 v[34:35], v[34:35], -v[30:31]
	v_add_f64 v[32:33], v[32:33], -v[28:29]
	v_add_f64 v[57:58], v[16:17], v[20:21]
	v_add_f64 v[59:60], v[18:19], v[22:23]
	v_add_f64 v[65:66], v[22:23], -v[26:27]
	v_add_f64 v[67:68], v[20:21], -v[24:25]
	v_add_f64 v[20:21], v[49:50], v[28:29]
	v_add_f64 v[22:23], v[51:52], v[30:31]
	v_fma_f64 v[28:29], v[53:54], -0.5, v[12:13]
	v_fma_f64 v[30:31], v[55:56], -0.5, v[14:15]
	;; [unrolled: 1-line block ×4, first 2 shown]
	v_fma_f64 v[0:1], v[77:78], s[6:7], v[8:9]
	v_fma_f64 v[8:9], v[77:78], s[8:9], v[8:9]
	;; [unrolled: 1-line block ×6, first 2 shown]
	v_add_f64 v[12:13], v[57:58], v[24:25]
	v_add_f64 v[14:15], v[59:60], v[26:27]
	v_fma_f64 v[24:25], v[34:35], s[8:9], v[28:29]
	v_fma_f64 v[26:27], v[32:33], s[6:7], v[30:31]
	;; [unrolled: 1-line block ×6, first 2 shown]
	v_add3_u32 v49, 0, v81, v82
	ds_write_b128 v83, v[20:23]
	ds_write_b128 v83, v[16:19] offset:48
	ds_write_b128 v83, v[24:27] offset:96
	ds_write_b128 v49, v[12:15]
	ds_write_b128 v49, v[28:31] offset:48
	ds_write_b128 v49, v[32:35] offset:96
	s_and_saveexec_b64 s[6:7], s[0:1]
	s_cbranch_execz .LBB0_21
; %bb.20:
	v_mul_lo_u16_e32 v12, 9, v47
	v_lshlrev_b32_e32 v13, 4, v48
	v_lshlrev_b32_e32 v12, 4, v12
	v_add3_u32 v12, 0, v13, v12
	ds_write_b128 v12, v[4:7]
	ds_write_b128 v12, v[0:3] offset:48
	ds_write_b128 v12, v[8:11] offset:96
.LBB0_21:
	s_or_b64 exec, exec, s[6:7]
	s_waitcnt lgkmcnt(0)
	s_barrier
	v_add_u32_e32 v44, v44, v45
	ds_read_b128 v[16:19], v42
	ds_read_b128 v[12:15], v44
	ds_read_b128 v[28:31], v42 offset:7056
	ds_read_b128 v[20:23], v42 offset:10080
	;; [unrolled: 1-line block ×4, first 2 shown]
	v_lshl_add_u32 v45, v41, 4, 0
	s_and_saveexec_b64 s[6:7], s[0:1]
	s_cbranch_execz .LBB0_23
; %bb.22:
	ds_read_b128 v[4:7], v45 offset:6048
	ds_read_b128 v[0:3], v42 offset:13104
	;; [unrolled: 1-line block ×3, first 2 shown]
.LBB0_23:
	s_or_b64 exec, exec, s[6:7]
	v_mov_b32_e32 v47, 57
	v_mul_lo_u16_sdwa v47, v41, v47 dst_sel:DWORD dst_unused:UNUSED_PAD src0_sel:BYTE_0 src1_sel:DWORD
	v_lshrrev_b16_e32 v63, 9, v47
	v_mul_lo_u16_e32 v47, 9, v63
	v_sub_u16_e32 v64, v41, v47
	v_mov_b32_e32 v47, 5
	v_lshlrev_b32_sdwa v55, v47, v64 dst_sel:DWORD dst_unused:UNUSED_PAD src0_sel:DWORD src1_sel:BYTE_0
	s_mov_b32 s16, 0xe38f
	global_load_dwordx4 v[47:50], v55, s[12:13] offset:96
	global_load_dwordx4 v[51:54], v55, s[12:13] offset:112
	v_mul_u32_u24_sdwa v55, v43, s16 dst_sel:DWORD dst_unused:UNUSED_PAD src0_sel:WORD_0 src1_sel:DWORD
	v_lshrrev_b32_e32 v65, 19, v55
	v_mul_lo_u16_e32 v55, 9, v65
	v_sub_u16_e32 v66, v43, v55
	v_lshlrev_b32_e32 v43, 5, v66
	global_load_dwordx4 v[55:58], v43, s[12:13] offset:96
	global_load_dwordx4 v[59:62], v43, s[12:13] offset:112
	v_mov_b32_e32 v43, 4
	v_mul_u32_u24_e32 v71, 0x1b0, v63
	v_mul_u32_u24_e32 v72, 0x1b0, v65
	v_lshlrev_b32_sdwa v73, v43, v64 dst_sel:DWORD dst_unused:UNUSED_PAD src0_sel:DWORD src1_sel:BYTE_0
	v_lshlrev_b32_e32 v74, 4, v66
	s_mov_b32 s6, 0xe8584caa
	s_mov_b32 s7, 0x3febb67a
	;; [unrolled: 1-line block ×3, first 2 shown]
	s_waitcnt vmcnt(0) lgkmcnt(0)
	s_barrier
	v_mul_f64 v[63:64], v[30:31], v[49:50]
	v_mul_f64 v[49:50], v[28:29], v[49:50]
	;; [unrolled: 1-line block ×8, first 2 shown]
	v_fma_f64 v[28:29], v[28:29], v[47:48], -v[63:64]
	v_fma_f64 v[30:31], v[30:31], v[47:48], v[49:50]
	v_fma_f64 v[32:33], v[32:33], v[51:52], -v[65:66]
	v_fma_f64 v[34:35], v[34:35], v[51:52], v[53:54]
	;; [unrolled: 2-line block ×4, first 2 shown]
	v_add_f64 v[47:48], v[16:17], v[28:29]
	v_add_f64 v[53:54], v[18:19], v[30:31]
	;; [unrolled: 1-line block ×3, first 2 shown]
	v_add_f64 v[51:52], v[30:31], -v[34:35]
	v_add_f64 v[30:31], v[30:31], v[34:35]
	v_add_f64 v[61:62], v[14:15], v[22:23]
	;; [unrolled: 1-line block ×3, first 2 shown]
	v_add_f64 v[59:60], v[22:23], -v[26:27]
	v_add_f64 v[22:23], v[22:23], v[26:27]
	v_add_f64 v[28:29], v[28:29], -v[32:33]
	v_fma_f64 v[49:50], v[49:50], -0.5, v[16:17]
	v_add_f64 v[55:56], v[12:13], v[20:21]
	v_fma_f64 v[30:31], v[30:31], -0.5, v[18:19]
	v_add_f64 v[63:64], v[20:21], -v[24:25]
	v_add_f64 v[16:17], v[47:48], v[32:33]
	v_add_f64 v[18:19], v[53:54], v[34:35]
	v_fma_f64 v[32:33], v[57:58], -0.5, v[12:13]
	v_fma_f64 v[34:35], v[22:23], -0.5, v[14:15]
	v_fma_f64 v[20:21], v[51:52], s[6:7], v[49:50]
	v_add_f64 v[12:13], v[55:56], v[24:25]
	v_fma_f64 v[22:23], v[28:29], s[8:9], v[30:31]
	v_add_f64 v[14:15], v[61:62], v[26:27]
	v_fma_f64 v[24:25], v[51:52], s[8:9], v[49:50]
	v_fma_f64 v[26:27], v[28:29], s[6:7], v[30:31]
	;; [unrolled: 1-line block ×6, first 2 shown]
	v_add3_u32 v47, 0, v71, v73
	v_add3_u32 v48, 0, v72, v74
	ds_write_b128 v47, v[16:19]
	ds_write_b128 v47, v[20:23] offset:144
	ds_write_b128 v47, v[24:27] offset:288
	ds_write_b128 v48, v[12:15]
	ds_write_b128 v48, v[28:31] offset:144
	ds_write_b128 v48, v[32:35] offset:288
	s_and_saveexec_b64 s[14:15], s[0:1]
	s_cbranch_execz .LBB0_25
; %bb.24:
	v_mul_u32_u24_sdwa v12, v46, s16 dst_sel:DWORD dst_unused:UNUSED_PAD src0_sel:WORD_0 src1_sel:DWORD
	v_lshrrev_b32_e32 v24, 19, v12
	v_mul_lo_u16_e32 v12, 9, v24
	v_sub_u16_e32 v25, v46, v12
	v_lshlrev_b32_e32 v20, 5, v25
	global_load_dwordx4 v[12:15], v20, s[12:13] offset:96
	global_load_dwordx4 v[16:19], v20, s[12:13] offset:112
	s_waitcnt vmcnt(1)
	v_mul_f64 v[20:21], v[0:1], v[14:15]
	s_waitcnt vmcnt(0)
	v_mul_f64 v[22:23], v[8:9], v[18:19]
	v_mul_f64 v[14:15], v[2:3], v[14:15]
	;; [unrolled: 1-line block ×3, first 2 shown]
	v_fma_f64 v[2:3], v[2:3], v[12:13], v[20:21]
	v_fma_f64 v[10:11], v[10:11], v[16:17], v[22:23]
	v_fma_f64 v[0:1], v[0:1], v[12:13], -v[14:15]
	v_fma_f64 v[8:9], v[8:9], v[16:17], -v[18:19]
	v_add_f64 v[18:19], v[6:7], v[2:3]
	v_add_f64 v[12:13], v[2:3], v[10:11]
	v_add_f64 v[20:21], v[2:3], -v[10:11]
	v_add_f64 v[14:15], v[0:1], v[8:9]
	v_add_f64 v[16:17], v[0:1], -v[8:9]
	v_add_f64 v[0:1], v[4:5], v[0:1]
	v_add_f64 v[2:3], v[18:19], v[10:11]
	v_fma_f64 v[12:13], v[12:13], -0.5, v[6:7]
	v_fma_f64 v[4:5], v[14:15], -0.5, v[4:5]
	v_add_f64 v[0:1], v[0:1], v[8:9]
	v_fma_f64 v[10:11], v[16:17], s[8:9], v[12:13]
	v_fma_f64 v[6:7], v[16:17], s[6:7], v[12:13]
	;; [unrolled: 1-line block ×4, first 2 shown]
	v_mul_lo_u16_e32 v12, 27, v24
	v_lshlrev_b32_e32 v12, 4, v12
	v_lshlrev_b32_e32 v13, 4, v25
	v_add3_u32 v12, 0, v13, v12
	ds_write_b128 v12, v[0:3]
	ds_write_b128 v12, v[8:11] offset:144
	ds_write_b128 v12, v[4:7] offset:288
.LBB0_25:
	s_or_b64 exec, exec, s[14:15]
	v_mov_b32_e32 v0, 19
	v_mul_lo_u16_sdwa v0, v41, v0 dst_sel:DWORD dst_unused:UNUSED_PAD src0_sel:BYTE_0 src1_sel:DWORD
	v_lshrrev_b16_e32 v62, 9, v0
	v_mul_lo_u16_e32 v0, 27, v62
	v_sub_u16_e32 v63, v41, v0
	v_mov_b32_e32 v0, 6
	v_mul_u32_u24_sdwa v0, v63, v0 dst_sel:DWORD dst_unused:UNUSED_PAD src0_sel:BYTE_0 src1_sel:DWORD
	v_lshlrev_b32_e32 v24, 4, v0
	s_waitcnt lgkmcnt(0)
	s_barrier
	global_load_dwordx4 v[0:3], v24, s[12:13] offset:384
	global_load_dwordx4 v[4:7], v24, s[12:13] offset:400
	;; [unrolled: 1-line block ×6, first 2 shown]
	v_mul_u32_u24_e32 v62, 0xbd0, v62
	v_lshlrev_b32_sdwa v43, v43, v63 dst_sel:DWORD dst_unused:UNUSED_PAD src0_sel:DWORD src1_sel:BYTE_0
	ds_read_b128 v[24:27], v44
	ds_read_b128 v[28:31], v42
	ds_read_b128 v[32:35], v42 offset:9072
	ds_read_b128 v[46:49], v42 offset:12096
	;; [unrolled: 1-line block ×5, first 2 shown]
	v_add3_u32 v43, 0, v62, v43
	s_mov_b32 s0, 0x37e14327
	s_mov_b32 s6, 0x36b3c0b5
	;; [unrolled: 1-line block ×20, first 2 shown]
	s_waitcnt vmcnt(0) lgkmcnt(0)
	s_barrier
	v_mul_f64 v[62:63], v[26:27], v[2:3]
	v_mul_f64 v[2:3], v[24:25], v[2:3]
	;; [unrolled: 1-line block ×9, first 2 shown]
	v_fma_f64 v[24:25], v[24:25], v[0:1], -v[62:63]
	v_fma_f64 v[0:1], v[26:27], v[0:1], v[2:3]
	v_mul_f64 v[2:3], v[50:51], v[22:23]
	v_mul_f64 v[68:69], v[48:49], v[14:15]
	;; [unrolled: 1-line block ×3, first 2 shown]
	v_fma_f64 v[22:23], v[54:55], v[4:5], -v[64:65]
	v_fma_f64 v[4:5], v[56:57], v[4:5], v[6:7]
	v_fma_f64 v[6:7], v[58:59], v[16:17], -v[70:71]
	v_fma_f64 v[16:17], v[60:61], v[16:17], v[18:19]
	;; [unrolled: 2-line block ×5, first 2 shown]
	v_add_f64 v[14:15], v[24:25], v[6:7]
	v_add_f64 v[26:27], v[0:1], v[16:17]
	v_add_f64 v[6:7], v[24:25], -v[6:7]
	v_add_f64 v[0:1], v[0:1], -v[16:17]
	v_add_f64 v[16:17], v[22:23], v[10:11]
	v_add_f64 v[24:25], v[4:5], v[2:3]
	v_add_f64 v[10:11], v[22:23], -v[10:11]
	v_add_f64 v[2:3], v[4:5], -v[2:3]
	;; [unrolled: 4-line block ×4, first 2 shown]
	v_add_f64 v[14:15], v[14:15], -v[4:5]
	v_add_f64 v[26:27], v[26:27], -v[22:23]
	;; [unrolled: 1-line block ×3, first 2 shown]
	v_add_f64 v[48:49], v[8:9], v[2:3]
	v_add_f64 v[50:51], v[18:19], -v[10:11]
	v_add_f64 v[52:53], v[8:9], -v[2:3]
	v_add_f64 v[4:5], v[4:5], v[12:13]
	v_add_f64 v[12:13], v[22:23], v[20:21]
	v_add_f64 v[24:25], v[22:23], -v[24:25]
	v_add_f64 v[46:47], v[18:19], v[10:11]
	v_add_f64 v[10:11], v[10:11], -v[6:7]
	v_add_f64 v[54:55], v[2:3], -v[0:1]
	;; [unrolled: 1-line block ×4, first 2 shown]
	v_add_f64 v[20:21], v[48:49], v[0:1]
	v_mul_f64 v[14:15], v[14:15], s[0:1]
	v_mul_f64 v[22:23], v[26:27], s[0:1]
	;; [unrolled: 1-line block ×5, first 2 shown]
	v_add_f64 v[0:1], v[28:29], v[4:5]
	v_add_f64 v[2:3], v[30:31], v[12:13]
	;; [unrolled: 1-line block ×3, first 2 shown]
	v_mul_f64 v[46:47], v[24:25], s[6:7]
	v_mul_f64 v[52:53], v[10:11], s[8:9]
	;; [unrolled: 1-line block ×3, first 2 shown]
	v_fma_f64 v[16:17], v[16:17], s[6:7], v[14:15]
	v_fma_f64 v[24:25], v[24:25], s[6:7], v[22:23]
	v_fma_f64 v[26:27], v[32:33], s[18:19], -v[26:27]
	v_fma_f64 v[14:15], v[32:33], s[20:21], -v[14:15]
	v_fma_f64 v[30:31], v[18:19], s[22:23], v[48:49]
	v_fma_f64 v[32:33], v[8:9], s[22:23], v[50:51]
	;; [unrolled: 1-line block ×4, first 2 shown]
	v_fma_f64 v[28:29], v[34:35], s[18:19], -v[46:47]
	v_fma_f64 v[22:23], v[34:35], s[20:21], -v[22:23]
	;; [unrolled: 1-line block ×6, first 2 shown]
	v_fma_f64 v[30:31], v[6:7], s[24:25], v[30:31]
	v_fma_f64 v[32:33], v[20:21], s[24:25], v[32:33]
	v_add_f64 v[50:51], v[16:17], v[4:5]
	v_add_f64 v[52:53], v[24:25], v[12:13]
	v_fma_f64 v[34:35], v[20:21], s[24:25], v[34:35]
	v_fma_f64 v[48:49], v[6:7], s[24:25], v[18:19]
	;; [unrolled: 1-line block ×3, first 2 shown]
	v_add_f64 v[24:25], v[14:15], v[4:5]
	v_add_f64 v[22:23], v[22:23], v[12:13]
	v_fma_f64 v[46:47], v[6:7], s[24:25], v[10:11]
	v_add_f64 v[16:17], v[26:27], v[4:5]
	v_add_f64 v[18:19], v[28:29], v[12:13]
	;; [unrolled: 1-line block ×3, first 2 shown]
	v_add_f64 v[6:7], v[52:53], -v[30:31]
	v_add_f64 v[26:27], v[30:31], v[52:53]
	v_add_f64 v[8:9], v[20:21], v[24:25]
	v_add_f64 v[10:11], v[22:23], -v[48:49]
	v_add_f64 v[20:21], v[24:25], -v[20:21]
	;; [unrolled: 1-line block ×3, first 2 shown]
	v_add_f64 v[14:15], v[46:47], v[18:19]
	v_add_f64 v[16:17], v[34:35], v[16:17]
	v_add_f64 v[18:19], v[18:19], -v[46:47]
	v_add_f64 v[22:23], v[48:49], v[22:23]
	v_add_f64 v[24:25], v[50:51], -v[32:33]
	ds_write_b128 v43, v[0:3]
	ds_write_b128 v43, v[4:7] offset:432
	ds_write_b128 v43, v[8:11] offset:864
	ds_write_b128 v43, v[12:15] offset:1296
	ds_write_b128 v43, v[16:19] offset:1728
	ds_write_b128 v43, v[20:23] offset:2160
	ds_write_b128 v43, v[24:27] offset:2592
	s_waitcnt lgkmcnt(0)
	s_barrier
	s_and_saveexec_b64 s[28:29], vcc
	s_cbranch_execz .LBB0_27
; %bb.26:
	v_mul_u32_u24_e32 v0, 6, v41
	v_lshlrev_b32_e32 v24, 4, v0
	global_load_dwordx4 v[0:3], v24, s[12:13] offset:3008
	global_load_dwordx4 v[4:7], v24, s[12:13] offset:3024
	;; [unrolled: 1-line block ×6, first 2 shown]
	v_mul_lo_u32 v61, s5, v38
	v_mul_lo_u32 v62, s4, v39
	v_mad_u64_u32 v[38:39], s[4:5], s4, v38, 0
	ds_read_b128 v[24:27], v42 offset:12096
	ds_read_b128 v[28:31], v42 offset:15120
	ds_read_b128 v[32:35], v44
	ds_read_b128 v[43:46], v45 offset:6048
	ds_read_b128 v[47:50], v42 offset:18144
	;; [unrolled: 1-line block ×3, first 2 shown]
	ds_read_b128 v[55:58], v42
	v_mad_u64_u32 v[41:42], s[4:5], s2, v40, 0
	v_add3_u32 v39, v39, v62, v61
	v_lshlrev_b64 v[38:39], 4, v[38:39]
	v_mov_b32_e32 v63, s11
	s_waitcnt lgkmcnt(3)
	v_mad_u64_u32 v[61:62], s[4:5], s3, v40, v[42:43]
	v_add_co_u32_e32 v42, vcc, s10, v38
	v_addc_co_u32_e32 v73, vcc, v63, v39, vcc
	v_lshlrev_b64 v[36:37], 4, v[36:37]
	v_add_u32_e32 v72, 0xbd, v40
	v_mad_u64_u32 v[59:60], s[4:5], s2, v72, 0
	s_waitcnt vmcnt(5) lgkmcnt(1)
	v_mul_f64 v[38:39], v[2:3], v[53:54]
	v_mul_f64 v[53:54], v[0:1], v[53:54]
	s_waitcnt vmcnt(4)
	v_mul_f64 v[62:63], v[6:7], v[26:27]
	s_waitcnt vmcnt(3)
	;; [unrolled: 2-line block ×5, first 2 shown]
	v_mul_f64 v[70:71], v[22:23], v[49:50]
	v_mul_f64 v[30:31], v[12:13], v[30:31]
	v_fma_f64 v[0:1], v[0:1], v[51:52], -v[38:39]
	v_mul_f64 v[38:39], v[8:9], v[45:46]
	v_mul_f64 v[34:35], v[16:17], v[34:35]
	;; [unrolled: 1-line block ×4, first 2 shown]
	v_fma_f64 v[4:5], v[4:5], v[24:25], -v[62:63]
	v_fma_f64 v[8:9], v[8:9], v[43:44], -v[64:65]
	;; [unrolled: 1-line block ×5, first 2 shown]
	v_fma_f64 v[10:11], v[43:44], v[10:11], v[38:39]
	v_fma_f64 v[14:15], v[28:29], v[14:15], v[30:31]
	;; [unrolled: 1-line block ×6, first 2 shown]
	v_add_f64 v[24:25], v[4:5], -v[0:1]
	v_add_f64 v[26:27], v[8:9], -v[12:13]
	v_add_f64 v[0:1], v[4:5], v[0:1]
	v_add_f64 v[32:33], v[10:11], v[14:15]
	;; [unrolled: 1-line block ×5, first 2 shown]
	v_add_f64 v[28:29], v[16:17], -v[20:21]
	v_add_f64 v[30:31], v[6:7], v[2:3]
	v_add_f64 v[2:3], v[6:7], -v[2:3]
	v_add_f64 v[6:7], v[10:11], -v[14:15]
	;; [unrolled: 1-line block ×3, first 2 shown]
	v_add_co_u32_e32 v50, vcc, v42, v36
	v_add_f64 v[22:23], v[32:33], v[34:35]
	v_add_f64 v[38:39], v[4:5], v[8:9]
	v_addc_co_u32_e32 v51, vcc, v73, v37, vcc
	v_add_f64 v[12:13], v[24:25], v[26:27]
	v_add_f64 v[14:15], v[24:25], -v[26:27]
	v_add_f64 v[16:17], v[28:29], -v[24:25]
	;; [unrolled: 1-line block ×6, first 2 shown]
	v_add_f64 v[42:43], v[2:3], v[6:7]
	v_add_f64 v[44:45], v[2:3], -v[6:7]
	v_add_f64 v[26:27], v[26:27], -v[28:29]
	;; [unrolled: 1-line block ×4, first 2 shown]
	v_add_f64 v[22:23], v[30:31], v[22:23]
	v_add_f64 v[34:35], v[0:1], v[38:39]
	v_add_f64 v[46:47], v[10:11], -v[2:3]
	v_add_f64 v[4:5], v[4:5], -v[8:9]
	v_add_f64 v[8:9], v[12:13], v[28:29]
	v_mul_f64 v[12:13], v[14:15], s[16:17]
	v_mul_f64 v[14:15], v[18:19], s[6:7]
	v_mul_f64 v[20:21], v[20:21], s[0:1]
	v_mul_f64 v[28:29], v[24:25], s[6:7]
	v_mul_f64 v[30:31], v[36:37], s[0:1]
	v_add_f64 v[10:11], v[42:43], v[10:11]
	v_mul_f64 v[36:37], v[44:45], s[16:17]
	v_mul_f64 v[38:39], v[26:27], s[8:9]
	;; [unrolled: 1-line block ×3, first 2 shown]
	s_waitcnt lgkmcnt(0)
	v_add_f64 v[2:3], v[57:58], v[22:23]
	v_add_f64 v[0:1], v[55:56], v[34:35]
	v_fma_f64 v[44:45], v[16:17], s[22:23], v[12:13]
	v_fma_f64 v[18:19], v[18:19], s[6:7], v[20:21]
	;; [unrolled: 1-line block ×3, first 2 shown]
	v_fma_f64 v[20:21], v[32:33], s[20:21], -v[20:21]
	v_fma_f64 v[16:17], v[16:17], s[26:27], -v[38:39]
	;; [unrolled: 1-line block ×8, first 2 shown]
	v_fma_f64 v[22:23], v[22:23], s[14:15], v[2:3]
	v_fma_f64 v[26:27], v[34:35], s[14:15], v[0:1]
	;; [unrolled: 1-line block ×8, first 2 shown]
	v_add_f64 v[43:44], v[18:19], v[22:23]
	v_add_f64 v[20:21], v[20:21], v[22:23]
	;; [unrolled: 1-line block ×5, first 2 shown]
	v_fma_f64 v[32:33], v[10:11], s[24:25], v[48:49]
	v_add_f64 v[24:25], v[24:25], v[26:27]
	v_mov_b32_e32 v42, v61
	v_lshlrev_b64 v[41:42], 4, v[41:42]
	v_add_f64 v[10:11], v[34:35], v[20:21]
	v_add_f64 v[8:9], v[30:31], -v[36:37]
	v_add_f64 v[14:15], v[18:19], -v[16:17]
	v_add_f64 v[12:13], v[38:39], v[22:23]
	v_add_f64 v[18:19], v[16:17], v[18:19]
	v_add_f64 v[16:17], v[22:23], -v[38:39]
	v_add_f64 v[22:23], v[20:21], -v[34:35]
	v_add_f64 v[20:21], v[36:37], v[30:31]
	v_mov_b32_e32 v30, v60
	v_add_f64 v[4:5], v[24:25], -v[32:33]
	v_add_f64 v[24:25], v[32:33], v[24:25]
	v_mad_u64_u32 v[30:31], s[0:1], s3, v72, v[30:31]
	v_add_u32_e32 v33, 0x17a, v40
	v_add_f64 v[26:27], v[43:44], -v[28:29]
	v_mad_u64_u32 v[31:32], s[0:1], s2, v33, 0
	v_add_f64 v[6:7], v[28:29], v[43:44]
	v_add_co_u32_e32 v28, vcc, v50, v41
	v_addc_co_u32_e32 v29, vcc, v51, v42, vcc
	v_mov_b32_e32 v60, v30
	global_store_dwordx4 v[28:29], v[0:3], off
	s_nop 0
	v_lshlrev_b64 v[0:1], 4, v[59:60]
	v_mov_b32_e32 v2, v32
	v_mad_u64_u32 v[2:3], s[0:1], s3, v33, v[2:3]
	v_add_co_u32_e32 v0, vcc, v50, v0
	v_addc_co_u32_e32 v1, vcc, v51, v1, vcc
	global_store_dwordx4 v[0:1], v[24:27], off
	v_mov_b32_e32 v32, v2
	v_add_u32_e32 v24, 0x237, v40
	v_mad_u64_u32 v[2:3], s[0:1], s2, v24, 0
	v_add_u32_e32 v27, 0x2f4, v40
	v_lshlrev_b64 v[0:1], 4, v[31:32]
	v_mad_u64_u32 v[24:25], s[0:1], s3, v24, v[3:4]
	v_mad_u64_u32 v[25:26], s[0:1], s2, v27, 0
	v_add_co_u32_e32 v0, vcc, v50, v0
	v_addc_co_u32_e32 v1, vcc, v51, v1, vcc
	v_mov_b32_e32 v3, v24
	global_store_dwordx4 v[0:1], v[20:23], off
	v_lshlrev_b64 v[0:1], 4, v[2:3]
	v_mov_b32_e32 v2, v26
	v_mad_u64_u32 v[2:3], s[0:1], s3, v27, v[2:3]
	v_add_co_u32_e32 v0, vcc, v50, v0
	v_addc_co_u32_e32 v1, vcc, v51, v1, vcc
	global_store_dwordx4 v[0:1], v[16:19], off
	v_mov_b32_e32 v26, v2
	v_add_u32_e32 v16, 0x3b1, v40
	v_mad_u64_u32 v[2:3], s[0:1], s2, v16, 0
	v_add_u32_e32 v19, 0x46e, v40
	v_lshlrev_b64 v[0:1], 4, v[25:26]
	v_mad_u64_u32 v[16:17], s[0:1], s3, v16, v[3:4]
	v_mad_u64_u32 v[17:18], s[0:1], s2, v19, 0
	v_add_co_u32_e32 v0, vcc, v50, v0
	v_addc_co_u32_e32 v1, vcc, v51, v1, vcc
	v_mov_b32_e32 v3, v16
	global_store_dwordx4 v[0:1], v[12:15], off
	v_lshlrev_b64 v[0:1], 4, v[2:3]
	v_mov_b32_e32 v2, v18
	v_mad_u64_u32 v[2:3], s[0:1], s3, v19, v[2:3]
	v_add_co_u32_e32 v0, vcc, v50, v0
	v_addc_co_u32_e32 v1, vcc, v51, v1, vcc
	v_mov_b32_e32 v18, v2
	global_store_dwordx4 v[0:1], v[8:11], off
	v_lshlrev_b64 v[0:1], 4, v[17:18]
	v_add_co_u32_e32 v0, vcc, v50, v0
	v_addc_co_u32_e32 v1, vcc, v51, v1, vcc
	global_store_dwordx4 v[0:1], v[4:7], off
.LBB0_27:
	s_endpgm
	.section	.rodata,"a",@progbits
	.p2align	6, 0x0
	.amdhsa_kernel fft_rtc_fwd_len1323_factors_3_3_3_7_7_wgs_189_tpt_189_dp_op_CI_CI_sbrr_dirReg
		.amdhsa_group_segment_fixed_size 0
		.amdhsa_private_segment_fixed_size 0
		.amdhsa_kernarg_size 104
		.amdhsa_user_sgpr_count 6
		.amdhsa_user_sgpr_private_segment_buffer 1
		.amdhsa_user_sgpr_dispatch_ptr 0
		.amdhsa_user_sgpr_queue_ptr 0
		.amdhsa_user_sgpr_kernarg_segment_ptr 1
		.amdhsa_user_sgpr_dispatch_id 0
		.amdhsa_user_sgpr_flat_scratch_init 0
		.amdhsa_user_sgpr_private_segment_size 0
		.amdhsa_uses_dynamic_stack 0
		.amdhsa_system_sgpr_private_segment_wavefront_offset 0
		.amdhsa_system_sgpr_workgroup_id_x 1
		.amdhsa_system_sgpr_workgroup_id_y 0
		.amdhsa_system_sgpr_workgroup_id_z 0
		.amdhsa_system_sgpr_workgroup_info 0
		.amdhsa_system_vgpr_workitem_id 0
		.amdhsa_next_free_vgpr 84
		.amdhsa_next_free_sgpr 32
		.amdhsa_reserve_vcc 1
		.amdhsa_reserve_flat_scratch 0
		.amdhsa_float_round_mode_32 0
		.amdhsa_float_round_mode_16_64 0
		.amdhsa_float_denorm_mode_32 3
		.amdhsa_float_denorm_mode_16_64 3
		.amdhsa_dx10_clamp 1
		.amdhsa_ieee_mode 1
		.amdhsa_fp16_overflow 0
		.amdhsa_exception_fp_ieee_invalid_op 0
		.amdhsa_exception_fp_denorm_src 0
		.amdhsa_exception_fp_ieee_div_zero 0
		.amdhsa_exception_fp_ieee_overflow 0
		.amdhsa_exception_fp_ieee_underflow 0
		.amdhsa_exception_fp_ieee_inexact 0
		.amdhsa_exception_int_div_zero 0
	.end_amdhsa_kernel
	.text
.Lfunc_end0:
	.size	fft_rtc_fwd_len1323_factors_3_3_3_7_7_wgs_189_tpt_189_dp_op_CI_CI_sbrr_dirReg, .Lfunc_end0-fft_rtc_fwd_len1323_factors_3_3_3_7_7_wgs_189_tpt_189_dp_op_CI_CI_sbrr_dirReg
                                        ; -- End function
	.section	.AMDGPU.csdata,"",@progbits
; Kernel info:
; codeLenInByte = 7008
; NumSgprs: 36
; NumVgprs: 84
; ScratchSize: 0
; MemoryBound: 1
; FloatMode: 240
; IeeeMode: 1
; LDSByteSize: 0 bytes/workgroup (compile time only)
; SGPRBlocks: 4
; VGPRBlocks: 20
; NumSGPRsForWavesPerEU: 36
; NumVGPRsForWavesPerEU: 84
; Occupancy: 3
; WaveLimiterHint : 1
; COMPUTE_PGM_RSRC2:SCRATCH_EN: 0
; COMPUTE_PGM_RSRC2:USER_SGPR: 6
; COMPUTE_PGM_RSRC2:TRAP_HANDLER: 0
; COMPUTE_PGM_RSRC2:TGID_X_EN: 1
; COMPUTE_PGM_RSRC2:TGID_Y_EN: 0
; COMPUTE_PGM_RSRC2:TGID_Z_EN: 0
; COMPUTE_PGM_RSRC2:TIDIG_COMP_CNT: 0
	.type	__hip_cuid_c6e687125bb5d42,@object ; @__hip_cuid_c6e687125bb5d42
	.section	.bss,"aw",@nobits
	.globl	__hip_cuid_c6e687125bb5d42
__hip_cuid_c6e687125bb5d42:
	.byte	0                               ; 0x0
	.size	__hip_cuid_c6e687125bb5d42, 1

	.ident	"AMD clang version 19.0.0git (https://github.com/RadeonOpenCompute/llvm-project roc-6.4.0 25133 c7fe45cf4b819c5991fe208aaa96edf142730f1d)"
	.section	".note.GNU-stack","",@progbits
	.addrsig
	.addrsig_sym __hip_cuid_c6e687125bb5d42
	.amdgpu_metadata
---
amdhsa.kernels:
  - .args:
      - .actual_access:  read_only
        .address_space:  global
        .offset:         0
        .size:           8
        .value_kind:     global_buffer
      - .offset:         8
        .size:           8
        .value_kind:     by_value
      - .actual_access:  read_only
        .address_space:  global
        .offset:         16
        .size:           8
        .value_kind:     global_buffer
      - .actual_access:  read_only
        .address_space:  global
        .offset:         24
        .size:           8
        .value_kind:     global_buffer
      - .actual_access:  read_only
        .address_space:  global
        .offset:         32
        .size:           8
        .value_kind:     global_buffer
      - .offset:         40
        .size:           8
        .value_kind:     by_value
      - .actual_access:  read_only
        .address_space:  global
        .offset:         48
        .size:           8
        .value_kind:     global_buffer
      - .actual_access:  read_only
        .address_space:  global
        .offset:         56
        .size:           8
        .value_kind:     global_buffer
      - .offset:         64
        .size:           4
        .value_kind:     by_value
      - .actual_access:  read_only
        .address_space:  global
        .offset:         72
        .size:           8
        .value_kind:     global_buffer
      - .actual_access:  read_only
        .address_space:  global
        .offset:         80
        .size:           8
        .value_kind:     global_buffer
      - .actual_access:  read_only
        .address_space:  global
        .offset:         88
        .size:           8
        .value_kind:     global_buffer
      - .actual_access:  write_only
        .address_space:  global
        .offset:         96
        .size:           8
        .value_kind:     global_buffer
    .group_segment_fixed_size: 0
    .kernarg_segment_align: 8
    .kernarg_segment_size: 104
    .language:       OpenCL C
    .language_version:
      - 2
      - 0
    .max_flat_workgroup_size: 189
    .name:           fft_rtc_fwd_len1323_factors_3_3_3_7_7_wgs_189_tpt_189_dp_op_CI_CI_sbrr_dirReg
    .private_segment_fixed_size: 0
    .sgpr_count:     36
    .sgpr_spill_count: 0
    .symbol:         fft_rtc_fwd_len1323_factors_3_3_3_7_7_wgs_189_tpt_189_dp_op_CI_CI_sbrr_dirReg.kd
    .uniform_work_group_size: 1
    .uses_dynamic_stack: false
    .vgpr_count:     84
    .vgpr_spill_count: 0
    .wavefront_size: 64
amdhsa.target:   amdgcn-amd-amdhsa--gfx906
amdhsa.version:
  - 1
  - 2
...

	.end_amdgpu_metadata
